;; amdgpu-corpus repo=ROCm/rocFFT kind=compiled arch=gfx1201 opt=O3
	.text
	.amdgcn_target "amdgcn-amd-amdhsa--gfx1201"
	.amdhsa_code_object_version 6
	.protected	fft_rtc_back_len1000_factors_10_10_10_wgs_100_tpt_100_halfLds_sp_op_CI_CI_unitstride_sbrr_R2C_dirReg ; -- Begin function fft_rtc_back_len1000_factors_10_10_10_wgs_100_tpt_100_halfLds_sp_op_CI_CI_unitstride_sbrr_R2C_dirReg
	.globl	fft_rtc_back_len1000_factors_10_10_10_wgs_100_tpt_100_halfLds_sp_op_CI_CI_unitstride_sbrr_R2C_dirReg
	.p2align	8
	.type	fft_rtc_back_len1000_factors_10_10_10_wgs_100_tpt_100_halfLds_sp_op_CI_CI_unitstride_sbrr_R2C_dirReg,@function
fft_rtc_back_len1000_factors_10_10_10_wgs_100_tpt_100_halfLds_sp_op_CI_CI_unitstride_sbrr_R2C_dirReg: ; @fft_rtc_back_len1000_factors_10_10_10_wgs_100_tpt_100_halfLds_sp_op_CI_CI_unitstride_sbrr_R2C_dirReg
; %bb.0:
	s_clause 0x2
	s_load_b128 s[8:11], s[0:1], 0x0
	s_load_b128 s[4:7], s[0:1], 0x58
	;; [unrolled: 1-line block ×3, first 2 shown]
	v_mul_u32_u24_e32 v1, 0x290, v0
	v_mov_b32_e32 v3, 0
	v_mov_b32_e32 v7, 0
	;; [unrolled: 1-line block ×3, first 2 shown]
	s_delay_alu instid0(VALU_DEP_4) | instskip(NEXT) | instid1(VALU_DEP_1)
	v_lshrrev_b32_e32 v1, 16, v1
	v_dual_mov_b32 v10, v3 :: v_dual_add_nc_u32 v9, ttmp9, v1
	s_wait_kmcnt 0x0
	v_cmp_lt_u64_e64 s2, s[10:11], 2
	s_delay_alu instid0(VALU_DEP_1)
	s_and_b32 vcc_lo, exec_lo, s2
	s_cbranch_vccnz .LBB0_8
; %bb.1:
	s_load_b64 s[2:3], s[0:1], 0x10
	v_mov_b32_e32 v7, 0
	v_mov_b32_e32 v8, 0
	s_delay_alu instid0(VALU_DEP_2)
	v_mov_b32_e32 v1, v7
	s_add_nc_u64 s[16:17], s[14:15], 8
	s_add_nc_u64 s[18:19], s[12:13], 8
	s_mov_b64 s[20:21], 1
	v_mov_b32_e32 v2, v8
	s_wait_kmcnt 0x0
	s_add_nc_u64 s[22:23], s[2:3], 8
	s_mov_b32 s3, 0
.LBB0_2:                                ; =>This Inner Loop Header: Depth=1
	s_load_b64 s[24:25], s[22:23], 0x0
                                        ; implicit-def: $vgpr5_vgpr6
	s_mov_b32 s2, exec_lo
	s_wait_kmcnt 0x0
	v_or_b32_e32 v4, s25, v10
	s_delay_alu instid0(VALU_DEP_1)
	v_cmpx_ne_u64_e32 0, v[3:4]
	s_wait_alu 0xfffe
	s_xor_b32 s26, exec_lo, s2
	s_cbranch_execz .LBB0_4
; %bb.3:                                ;   in Loop: Header=BB0_2 Depth=1
	s_cvt_f32_u32 s2, s24
	s_cvt_f32_u32 s27, s25
	s_sub_nc_u64 s[30:31], 0, s[24:25]
	s_wait_alu 0xfffe
	s_delay_alu instid0(SALU_CYCLE_1) | instskip(SKIP_1) | instid1(SALU_CYCLE_2)
	s_fmamk_f32 s2, s27, 0x4f800000, s2
	s_wait_alu 0xfffe
	v_s_rcp_f32 s2, s2
	s_delay_alu instid0(TRANS32_DEP_1) | instskip(SKIP_1) | instid1(SALU_CYCLE_2)
	s_mul_f32 s2, s2, 0x5f7ffffc
	s_wait_alu 0xfffe
	s_mul_f32 s27, s2, 0x2f800000
	s_wait_alu 0xfffe
	s_delay_alu instid0(SALU_CYCLE_2) | instskip(SKIP_1) | instid1(SALU_CYCLE_2)
	s_trunc_f32 s27, s27
	s_wait_alu 0xfffe
	s_fmamk_f32 s2, s27, 0xcf800000, s2
	s_cvt_u32_f32 s29, s27
	s_wait_alu 0xfffe
	s_delay_alu instid0(SALU_CYCLE_1) | instskip(SKIP_1) | instid1(SALU_CYCLE_2)
	s_cvt_u32_f32 s28, s2
	s_wait_alu 0xfffe
	s_mul_u64 s[34:35], s[30:31], s[28:29]
	s_wait_alu 0xfffe
	s_mul_hi_u32 s37, s28, s35
	s_mul_i32 s36, s28, s35
	s_mul_hi_u32 s2, s28, s34
	s_mul_i32 s33, s29, s34
	s_wait_alu 0xfffe
	s_add_nc_u64 s[36:37], s[2:3], s[36:37]
	s_mul_hi_u32 s27, s29, s34
	s_mul_hi_u32 s38, s29, s35
	s_add_co_u32 s2, s36, s33
	s_wait_alu 0xfffe
	s_add_co_ci_u32 s2, s37, s27
	s_mul_i32 s34, s29, s35
	s_add_co_ci_u32 s35, s38, 0
	s_wait_alu 0xfffe
	s_add_nc_u64 s[34:35], s[2:3], s[34:35]
	s_wait_alu 0xfffe
	v_add_co_u32 v4, s2, s28, s34
	s_delay_alu instid0(VALU_DEP_1) | instskip(SKIP_1) | instid1(VALU_DEP_1)
	s_cmp_lg_u32 s2, 0
	s_add_co_ci_u32 s29, s29, s35
	v_readfirstlane_b32 s28, v4
	s_wait_alu 0xfffe
	s_delay_alu instid0(VALU_DEP_1)
	s_mul_u64 s[30:31], s[30:31], s[28:29]
	s_wait_alu 0xfffe
	s_mul_hi_u32 s35, s28, s31
	s_mul_i32 s34, s28, s31
	s_mul_hi_u32 s2, s28, s30
	s_mul_i32 s33, s29, s30
	s_wait_alu 0xfffe
	s_add_nc_u64 s[34:35], s[2:3], s[34:35]
	s_mul_hi_u32 s27, s29, s30
	s_mul_hi_u32 s28, s29, s31
	s_wait_alu 0xfffe
	s_add_co_u32 s2, s34, s33
	s_add_co_ci_u32 s2, s35, s27
	s_mul_i32 s30, s29, s31
	s_add_co_ci_u32 s31, s28, 0
	s_wait_alu 0xfffe
	s_add_nc_u64 s[30:31], s[2:3], s[30:31]
	s_wait_alu 0xfffe
	v_add_co_u32 v6, s2, v4, s30
	s_delay_alu instid0(VALU_DEP_1) | instskip(SKIP_1) | instid1(VALU_DEP_1)
	s_cmp_lg_u32 s2, 0
	s_add_co_ci_u32 s2, s29, s31
	v_mul_hi_u32 v15, v9, v6
	s_wait_alu 0xfffe
	v_mad_co_u64_u32 v[4:5], null, v9, s2, 0
	v_mad_co_u64_u32 v[11:12], null, v10, v6, 0
	;; [unrolled: 1-line block ×3, first 2 shown]
	s_delay_alu instid0(VALU_DEP_3) | instskip(SKIP_1) | instid1(VALU_DEP_4)
	v_add_co_u32 v4, vcc_lo, v15, v4
	s_wait_alu 0xfffd
	v_add_co_ci_u32_e32 v5, vcc_lo, 0, v5, vcc_lo
	s_delay_alu instid0(VALU_DEP_2) | instskip(SKIP_1) | instid1(VALU_DEP_2)
	v_add_co_u32 v4, vcc_lo, v4, v11
	s_wait_alu 0xfffd
	v_add_co_ci_u32_e32 v4, vcc_lo, v5, v12, vcc_lo
	s_wait_alu 0xfffd
	v_add_co_ci_u32_e32 v5, vcc_lo, 0, v14, vcc_lo
	s_delay_alu instid0(VALU_DEP_2) | instskip(SKIP_1) | instid1(VALU_DEP_2)
	v_add_co_u32 v11, vcc_lo, v4, v13
	s_wait_alu 0xfffd
	v_add_co_ci_u32_e32 v6, vcc_lo, 0, v5, vcc_lo
	s_delay_alu instid0(VALU_DEP_2) | instskip(SKIP_1) | instid1(VALU_DEP_3)
	v_mul_lo_u32 v12, s25, v11
	v_mad_co_u64_u32 v[4:5], null, s24, v11, 0
	v_mul_lo_u32 v13, s24, v6
	s_delay_alu instid0(VALU_DEP_2) | instskip(NEXT) | instid1(VALU_DEP_2)
	v_sub_co_u32 v4, vcc_lo, v9, v4
	v_add3_u32 v5, v5, v13, v12
	s_delay_alu instid0(VALU_DEP_1) | instskip(SKIP_1) | instid1(VALU_DEP_1)
	v_sub_nc_u32_e32 v12, v10, v5
	s_wait_alu 0xfffd
	v_subrev_co_ci_u32_e64 v12, s2, s25, v12, vcc_lo
	v_add_co_u32 v13, s2, v11, 2
	s_wait_alu 0xf1ff
	v_add_co_ci_u32_e64 v14, s2, 0, v6, s2
	v_sub_co_u32 v15, s2, v4, s24
	v_sub_co_ci_u32_e32 v5, vcc_lo, v10, v5, vcc_lo
	s_wait_alu 0xf1ff
	v_subrev_co_ci_u32_e64 v12, s2, 0, v12, s2
	s_delay_alu instid0(VALU_DEP_3) | instskip(NEXT) | instid1(VALU_DEP_3)
	v_cmp_le_u32_e32 vcc_lo, s24, v15
	v_cmp_eq_u32_e64 s2, s25, v5
	s_wait_alu 0xfffd
	v_cndmask_b32_e64 v15, 0, -1, vcc_lo
	v_cmp_le_u32_e32 vcc_lo, s25, v12
	s_wait_alu 0xfffd
	v_cndmask_b32_e64 v16, 0, -1, vcc_lo
	v_cmp_le_u32_e32 vcc_lo, s24, v4
	;; [unrolled: 3-line block ×3, first 2 shown]
	s_wait_alu 0xfffd
	v_cndmask_b32_e64 v17, 0, -1, vcc_lo
	v_cmp_eq_u32_e32 vcc_lo, s25, v12
	s_wait_alu 0xf1ff
	s_delay_alu instid0(VALU_DEP_2)
	v_cndmask_b32_e64 v4, v17, v4, s2
	s_wait_alu 0xfffd
	v_cndmask_b32_e32 v12, v16, v15, vcc_lo
	v_add_co_u32 v15, vcc_lo, v11, 1
	s_wait_alu 0xfffd
	v_add_co_ci_u32_e32 v16, vcc_lo, 0, v6, vcc_lo
	s_delay_alu instid0(VALU_DEP_3) | instskip(SKIP_1) | instid1(VALU_DEP_2)
	v_cmp_ne_u32_e32 vcc_lo, 0, v12
	s_wait_alu 0xfffd
	v_dual_cndmask_b32 v5, v16, v14 :: v_dual_cndmask_b32 v12, v15, v13
	v_cmp_ne_u32_e32 vcc_lo, 0, v4
	s_wait_alu 0xfffd
	s_delay_alu instid0(VALU_DEP_2)
	v_dual_cndmask_b32 v6, v6, v5 :: v_dual_cndmask_b32 v5, v11, v12
.LBB0_4:                                ;   in Loop: Header=BB0_2 Depth=1
	s_wait_alu 0xfffe
	s_and_not1_saveexec_b32 s2, s26
	s_cbranch_execz .LBB0_6
; %bb.5:                                ;   in Loop: Header=BB0_2 Depth=1
	v_cvt_f32_u32_e32 v4, s24
	s_sub_co_i32 s26, 0, s24
	s_delay_alu instid0(VALU_DEP_1) | instskip(NEXT) | instid1(TRANS32_DEP_1)
	v_rcp_iflag_f32_e32 v4, v4
	v_mul_f32_e32 v4, 0x4f7ffffe, v4
	s_delay_alu instid0(VALU_DEP_1) | instskip(SKIP_1) | instid1(VALU_DEP_1)
	v_cvt_u32_f32_e32 v4, v4
	s_wait_alu 0xfffe
	v_mul_lo_u32 v5, s26, v4
	s_delay_alu instid0(VALU_DEP_1) | instskip(NEXT) | instid1(VALU_DEP_1)
	v_mul_hi_u32 v5, v4, v5
	v_add_nc_u32_e32 v4, v4, v5
	s_delay_alu instid0(VALU_DEP_1) | instskip(NEXT) | instid1(VALU_DEP_1)
	v_mul_hi_u32 v4, v9, v4
	v_mul_lo_u32 v5, v4, s24
	v_add_nc_u32_e32 v6, 1, v4
	s_delay_alu instid0(VALU_DEP_2) | instskip(NEXT) | instid1(VALU_DEP_1)
	v_sub_nc_u32_e32 v5, v9, v5
	v_subrev_nc_u32_e32 v11, s24, v5
	v_cmp_le_u32_e32 vcc_lo, s24, v5
	s_wait_alu 0xfffd
	s_delay_alu instid0(VALU_DEP_2) | instskip(NEXT) | instid1(VALU_DEP_1)
	v_dual_cndmask_b32 v5, v5, v11 :: v_dual_cndmask_b32 v4, v4, v6
	v_cmp_le_u32_e32 vcc_lo, s24, v5
	s_delay_alu instid0(VALU_DEP_2) | instskip(SKIP_1) | instid1(VALU_DEP_1)
	v_add_nc_u32_e32 v6, 1, v4
	s_wait_alu 0xfffd
	v_dual_cndmask_b32 v5, v4, v6 :: v_dual_mov_b32 v6, v3
.LBB0_6:                                ;   in Loop: Header=BB0_2 Depth=1
	s_wait_alu 0xfffe
	s_or_b32 exec_lo, exec_lo, s2
	s_delay_alu instid0(VALU_DEP_1) | instskip(NEXT) | instid1(VALU_DEP_2)
	v_mul_lo_u32 v4, v6, s24
	v_mul_lo_u32 v13, v5, s25
	s_load_b64 s[26:27], s[18:19], 0x0
	v_mad_co_u64_u32 v[11:12], null, v5, s24, 0
	s_load_b64 s[24:25], s[16:17], 0x0
	s_add_nc_u64 s[20:21], s[20:21], 1
	s_add_nc_u64 s[16:17], s[16:17], 8
	s_wait_alu 0xfffe
	v_cmp_ge_u64_e64 s2, s[20:21], s[10:11]
	s_add_nc_u64 s[18:19], s[18:19], 8
	s_add_nc_u64 s[22:23], s[22:23], 8
	v_add3_u32 v4, v12, v13, v4
	v_sub_co_u32 v9, vcc_lo, v9, v11
	s_wait_alu 0xfffd
	s_delay_alu instid0(VALU_DEP_2) | instskip(SKIP_2) | instid1(VALU_DEP_1)
	v_sub_co_ci_u32_e32 v4, vcc_lo, v10, v4, vcc_lo
	s_and_b32 vcc_lo, exec_lo, s2
	s_wait_kmcnt 0x0
	v_mul_lo_u32 v10, s26, v4
	v_mul_lo_u32 v11, s27, v9
	v_mad_co_u64_u32 v[7:8], null, s26, v9, v[7:8]
	v_mul_lo_u32 v4, s24, v4
	v_mul_lo_u32 v12, s25, v9
	v_mad_co_u64_u32 v[1:2], null, s24, v9, v[1:2]
	s_delay_alu instid0(VALU_DEP_4) | instskip(NEXT) | instid1(VALU_DEP_2)
	v_add3_u32 v8, v11, v8, v10
	v_add3_u32 v2, v12, v2, v4
	s_wait_alu 0xfffe
	s_cbranch_vccnz .LBB0_9
; %bb.7:                                ;   in Loop: Header=BB0_2 Depth=1
	v_dual_mov_b32 v10, v6 :: v_dual_mov_b32 v9, v5
	s_branch .LBB0_2
.LBB0_8:
	v_dual_mov_b32 v1, v7 :: v_dual_mov_b32 v2, v8
	v_dual_mov_b32 v5, v9 :: v_dual_mov_b32 v6, v10
.LBB0_9:
	s_load_b64 s[0:1], s[0:1], 0x28
	v_mul_hi_u32 v4, 0x28f5c29, v0
	s_lshl_b64 s[10:11], s[10:11], 3
                                        ; implicit-def: $vgpr3
	s_wait_kmcnt 0x0
	v_cmp_gt_u64_e32 vcc_lo, s[0:1], v[5:6]
	v_cmp_le_u64_e64 s0, s[0:1], v[5:6]
	s_delay_alu instid0(VALU_DEP_1)
	s_and_saveexec_b32 s1, s0
	s_wait_alu 0xfffe
	s_xor_b32 s0, exec_lo, s1
; %bb.10:
	v_mul_u32_u24_e32 v3, 0x64, v4
                                        ; implicit-def: $vgpr4
                                        ; implicit-def: $vgpr7_vgpr8
	s_delay_alu instid0(VALU_DEP_1)
	v_sub_nc_u32_e32 v3, v0, v3
                                        ; implicit-def: $vgpr0
; %bb.11:
	s_wait_alu 0xfffe
	s_or_saveexec_b32 s1, s0
	s_add_nc_u64 s[2:3], s[14:15], s[10:11]
	s_wait_alu 0xfffe
	s_xor_b32 exec_lo, exec_lo, s1
	s_cbranch_execz .LBB0_13
; %bb.12:
	s_add_nc_u64 s[10:11], s[12:13], s[10:11]
	v_lshlrev_b64_e32 v[7:8], 3, v[7:8]
	s_load_b64 s[10:11], s[10:11], 0x0
	s_wait_kmcnt 0x0
	v_mul_lo_u32 v3, s11, v5
	v_mul_lo_u32 v11, s10, v6
	v_mad_co_u64_u32 v[9:10], null, s10, v5, 0
	s_delay_alu instid0(VALU_DEP_1) | instskip(SKIP_1) | instid1(VALU_DEP_2)
	v_add3_u32 v10, v10, v11, v3
	v_mul_u32_u24_e32 v3, 0x64, v4
	v_lshlrev_b64_e32 v[9:10], 3, v[9:10]
	s_delay_alu instid0(VALU_DEP_2) | instskip(NEXT) | instid1(VALU_DEP_1)
	v_sub_nc_u32_e32 v3, v0, v3
	v_lshlrev_b32_e32 v27, 3, v3
	s_delay_alu instid0(VALU_DEP_3) | instskip(SKIP_1) | instid1(VALU_DEP_4)
	v_add_co_u32 v0, s0, s4, v9
	s_wait_alu 0xf1ff
	v_add_co_ci_u32_e64 v4, s0, s5, v10, s0
	s_delay_alu instid0(VALU_DEP_2) | instskip(SKIP_1) | instid1(VALU_DEP_2)
	v_add_co_u32 v0, s0, v0, v7
	s_wait_alu 0xf1ff
	v_add_co_ci_u32_e64 v4, s0, v4, v8, s0
	s_delay_alu instid0(VALU_DEP_2) | instskip(SKIP_1) | instid1(VALU_DEP_2)
	v_add_co_u32 v7, s0, v0, v27
	s_wait_alu 0xf1ff
	v_add_co_ci_u32_e64 v8, s0, 0, v4, s0
	s_clause 0x9
	global_load_b64 v[9:10], v[7:8], off
	global_load_b64 v[11:12], v[7:8], off offset:800
	global_load_b64 v[13:14], v[7:8], off offset:1600
	global_load_b64 v[15:16], v[7:8], off offset:2400
	global_load_b64 v[17:18], v[7:8], off offset:3200
	global_load_b64 v[19:20], v[7:8], off offset:4000
	global_load_b64 v[21:22], v[7:8], off offset:4800
	global_load_b64 v[23:24], v[7:8], off offset:5600
	global_load_b64 v[25:26], v[7:8], off offset:6400
	global_load_b64 v[7:8], v[7:8], off offset:7200
	v_add_nc_u32_e32 v0, 0, v27
	s_delay_alu instid0(VALU_DEP_1)
	v_add_nc_u32_e32 v4, 0x400, v0
	v_add_nc_u32_e32 v27, 0x800, v0
	;; [unrolled: 1-line block ×4, first 2 shown]
	s_wait_loadcnt 0x8
	ds_store_2addr_b64 v0, v[9:10], v[11:12] offset1:100
	s_wait_loadcnt 0x6
	ds_store_2addr_b64 v4, v[13:14], v[15:16] offset0:72 offset1:172
	s_wait_loadcnt 0x4
	ds_store_2addr_b64 v27, v[17:18], v[19:20] offset0:144 offset1:244
	;; [unrolled: 2-line block ×4, first 2 shown]
.LBB0_13:
	s_or_b32 exec_lo, exec_lo, s1
	v_lshlrev_b32_e32 v4, 3, v3
	s_load_b64 s[2:3], s[2:3], 0x0
	global_wb scope:SCOPE_SE
	s_wait_dscnt 0x0
	s_wait_kmcnt 0x0
	s_barrier_signal -1
	s_barrier_wait -1
	v_add_nc_u32_e32 v0, 0, v4
	global_inv scope:SCOPE_SE
	s_mov_b32 s1, exec_lo
	v_add_nc_u32_e32 v10, 0x400, v0
	v_add_nc_u32_e32 v9, 0x800, v0
	v_add_nc_u32_e32 v8, 0x1000, v0
	v_add_nc_u32_e32 v7, 0x1800, v0
	ds_load_2addr_b64 v[11:14], v0 offset1:100
	ds_load_2addr_b64 v[15:18], v10 offset0:72 offset1:172
	ds_load_2addr_b64 v[19:22], v9 offset0:144 offset1:244
	;; [unrolled: 1-line block ×4, first 2 shown]
	global_wb scope:SCOPE_SE
	s_wait_dscnt 0x0
	s_barrier_signal -1
	s_barrier_wait -1
	global_inv scope:SCOPE_SE
	v_add_f32_e32 v31, v11, v15
	v_sub_f32_e32 v35, v15, v19
	v_add_f32_e32 v32, v19, v23
	v_sub_f32_e32 v36, v27, v23
	v_add_f32_e32 v37, v15, v27
	v_dual_sub_f32 v38, v19, v15 :: v_dual_add_f32 v41, v20, v24
	v_dual_add_f32 v40, v12, v16 :: v_dual_sub_f32 v15, v15, v27
	v_sub_f32_e32 v33, v16, v28
	v_dual_sub_f32 v34, v20, v24 :: v_dual_sub_f32 v39, v23, v27
	v_dual_sub_f32 v42, v19, v23 :: v_dual_sub_f32 v43, v16, v20
	v_dual_sub_f32 v44, v28, v24 :: v_dual_add_f32 v19, v31, v19
	v_add_f32_e32 v45, v16, v28
	v_fma_f32 v31, -0.5, v32, v11
	v_add_f32_e32 v32, v35, v36
	v_fma_f32 v35, -0.5, v37, v11
	v_dual_add_f32 v11, v38, v39 :: v_dual_add_f32 v36, v40, v20
	v_fma_f32 v37, -0.5, v41, v12
	v_fma_f32 v38, -0.5, v45, v12
	v_dual_add_f32 v12, v19, v23 :: v_dual_fmamk_f32 v23, v33, 0xbf737871, v31
	s_delay_alu instid0(VALU_DEP_3) | instskip(SKIP_4) | instid1(VALU_DEP_4)
	v_dual_add_f32 v19, v36, v24 :: v_dual_fmamk_f32 v36, v15, 0x3f737871, v37
	v_fmac_f32_e32 v31, 0x3f737871, v33
	v_fmamk_f32 v39, v34, 0x3f737871, v35
	v_fmac_f32_e32 v35, 0xbf737871, v34
	v_add_f32_e32 v27, v12, v27
	v_dual_sub_f32 v12, v20, v16 :: v_dual_fmac_f32 v31, 0x3f167918, v34
	v_dual_sub_f32 v16, v24, v28 :: v_dual_fmac_f32 v23, 0xbf167918, v34
	v_fmac_f32_e32 v39, 0xbf167918, v33
	v_dual_fmac_f32 v35, 0x3f167918, v33 :: v_dual_fmac_f32 v36, 0x3f167918, v42
	s_delay_alu instid0(VALU_DEP_3) | instskip(SKIP_4) | instid1(VALU_DEP_2)
	v_add_f32_e32 v12, v12, v16
	v_dual_add_f32 v16, v13, v17 :: v_dual_fmac_f32 v31, 0x3e9e377a, v32
	v_dual_sub_f32 v24, v17, v21 :: v_dual_fmamk_f32 v33, v42, 0xbf737871, v38
	v_fmac_f32_e32 v38, 0x3f737871, v42
	v_dual_fmac_f32 v35, 0x3e9e377a, v11 :: v_dual_add_f32 v34, v17, v29
	v_fmac_f32_e32 v38, 0xbf167918, v15
	v_fmac_f32_e32 v39, 0x3e9e377a, v11
	v_add_f32_e32 v11, v43, v44
	v_fmac_f32_e32 v23, 0x3e9e377a, v32
	v_dual_add_f32 v32, v19, v28 :: v_dual_add_f32 v19, v21, v25
	v_sub_f32_e32 v28, v29, v25
	v_fmac_f32_e32 v38, 0x3e9e377a, v12
	v_fmac_f32_e32 v36, 0x3e9e377a, v11
	s_delay_alu instid0(VALU_DEP_4)
	v_fma_f32 v20, -0.5, v19, v13
	v_sub_f32_e32 v19, v18, v30
	v_dual_fmac_f32 v37, 0xbf737871, v15 :: v_dual_add_f32 v24, v24, v28
	v_fmac_f32_e32 v33, 0x3f167918, v15
	v_sub_f32_e32 v15, v22, v26
	v_fma_f32 v28, -0.5, v34, v13
	s_delay_alu instid0(VALU_DEP_4) | instskip(SKIP_1) | instid1(VALU_DEP_2)
	v_fmac_f32_e32 v37, 0xbf167918, v42
	v_sub_f32_e32 v13, v25, v29
	v_fmac_f32_e32 v37, 0x3e9e377a, v11
	v_dual_add_f32 v11, v16, v21 :: v_dual_fmamk_f32 v16, v19, 0xbf737871, v20
	v_fmac_f32_e32 v20, 0x3f737871, v19
	s_delay_alu instid0(VALU_DEP_2) | instskip(NEXT) | instid1(VALU_DEP_2)
	v_fmac_f32_e32 v16, 0xbf167918, v15
	v_fmac_f32_e32 v20, 0x3f167918, v15
	s_delay_alu instid0(VALU_DEP_2) | instskip(NEXT) | instid1(VALU_DEP_2)
	v_fmac_f32_e32 v16, 0x3e9e377a, v24
	v_fmac_f32_e32 v20, 0x3e9e377a, v24
	v_fmamk_f32 v24, v15, 0x3f737871, v28
	s_delay_alu instid0(VALU_DEP_3) | instskip(NEXT) | instid1(VALU_DEP_2)
	v_mul_f32_e32 v42, 0x3f167918, v16
	v_dual_fmac_f32 v24, 0xbf167918, v19 :: v_dual_add_f32 v11, v11, v25
	v_fmac_f32_e32 v28, 0xbf737871, v15
	s_delay_alu instid0(VALU_DEP_2) | instskip(SKIP_1) | instid1(VALU_DEP_3)
	v_dual_add_f32 v34, v11, v29 :: v_dual_fmac_f32 v33, 0x3e9e377a, v12
	v_dual_sub_f32 v12, v21, v17 :: v_dual_add_f32 v11, v22, v26
	v_fmac_f32_e32 v28, 0x3f167918, v19
	s_delay_alu instid0(VALU_DEP_2) | instskip(NEXT) | instid1(VALU_DEP_3)
	v_dual_add_f32 v12, v12, v13 :: v_dual_add_f32 v13, v18, v30
	v_fma_f32 v40, -0.5, v11, v14
	v_sub_f32_e32 v11, v17, v29
	s_delay_alu instid0(VALU_DEP_3) | instskip(SKIP_2) | instid1(VALU_DEP_4)
	v_dual_sub_f32 v15, v21, v25 :: v_dual_fmac_f32 v28, 0x3e9e377a, v12
	v_dual_fmac_f32 v24, 0x3e9e377a, v12 :: v_dual_add_f32 v17, v14, v18
	v_fmac_f32_e32 v14, -0.5, v13
	v_dual_fmamk_f32 v29, v11, 0x3f737871, v40 :: v_dual_sub_f32 v12, v18, v22
	v_sub_f32_e32 v13, v30, v26
	s_delay_alu instid0(VALU_DEP_3) | instskip(SKIP_1) | instid1(VALU_DEP_4)
	v_dual_sub_f32 v18, v22, v18 :: v_dual_fmamk_f32 v21, v15, 0xbf737871, v14
	v_fmac_f32_e32 v14, 0x3f737871, v15
	v_fmac_f32_e32 v29, 0x3f167918, v15
	v_dual_sub_f32 v19, v26, v30 :: v_dual_fmac_f32 v40, 0xbf737871, v11
	s_delay_alu instid0(VALU_DEP_4) | instskip(NEXT) | instid1(VALU_DEP_4)
	v_dual_add_f32 v12, v12, v13 :: v_dual_fmac_f32 v21, 0x3f167918, v11
	v_dual_fmac_f32 v14, 0xbf167918, v11 :: v_dual_add_f32 v11, v17, v22
	s_delay_alu instid0(VALU_DEP_1) | instskip(NEXT) | instid1(VALU_DEP_1)
	v_dual_fmac_f32 v40, 0xbf167918, v15 :: v_dual_add_f32 v11, v11, v26
	v_dual_add_f32 v13, v18, v19 :: v_dual_fmac_f32 v40, 0x3e9e377a, v12
	s_delay_alu instid0(VALU_DEP_2) | instskip(NEXT) | instid1(VALU_DEP_2)
	v_dual_fmac_f32 v29, 0x3e9e377a, v12 :: v_dual_add_f32 v30, v11, v30
	v_fmac_f32_e32 v14, 0x3e9e377a, v13
	v_fmac_f32_e32 v21, 0x3e9e377a, v13
	s_delay_alu instid0(VALU_DEP_3) | instskip(NEXT) | instid1(VALU_DEP_4)
	v_dual_mul_f32 v22, 0xbf167918, v29 :: v_dual_mul_f32 v41, 0xbf167918, v40
	v_add_f32_e32 v12, v32, v30
	s_delay_alu instid0(VALU_DEP_3) | instskip(NEXT) | instid1(VALU_DEP_3)
	v_dual_mul_f32 v26, 0xbf737871, v14 :: v_dual_mul_f32 v25, 0xbf737871, v21
	v_dual_fmac_f32 v22, 0x3f4f1bbd, v16 :: v_dual_add_f32 v11, v27, v34
	v_mul_f32_e32 v43, 0x3e9e377a, v21
	s_delay_alu instid0(VALU_DEP_3) | instskip(NEXT) | instid1(VALU_DEP_3)
	v_fmac_f32_e32 v26, 0xbe9e377a, v28
	v_dual_fmac_f32 v42, 0x3f4f1bbd, v29 :: v_dual_add_f32 v13, v23, v22
	v_sub_f32_e32 v23, v23, v22
	s_delay_alu instid0(VALU_DEP_4) | instskip(NEXT) | instid1(VALU_DEP_4)
	v_dual_fmac_f32 v43, 0x3f737871, v24 :: v_dual_sub_f32 v22, v32, v30
	v_add_f32_e32 v17, v35, v26
	v_fmac_f32_e32 v41, 0xbf4f1bbd, v20
	v_mul_f32_e32 v44, 0xbe9e377a, v14
	s_delay_alu instid0(VALU_DEP_4) | instskip(SKIP_4) | instid1(VALU_DEP_4)
	v_add_f32_e32 v16, v33, v43
	v_and_b32_e32 v14, 0xff, v3
	v_fmac_f32_e32 v25, 0x3e9e377a, v24
	v_dual_add_f32 v19, v31, v41 :: v_dual_mul_f32 v40, 0xbf4f1bbd, v40
	v_sub_f32_e32 v29, v31, v41
	v_mul_lo_u16 v21, 0xcd, v14
	s_delay_alu instid0(VALU_DEP_4) | instskip(SKIP_1) | instid1(VALU_DEP_3)
	v_dual_add_f32 v14, v36, v42 :: v_dual_add_f32 v15, v39, v25
	v_dual_fmac_f32 v44, 0x3f737871, v28 :: v_dual_sub_f32 v25, v39, v25
	v_lshrrev_b16 v45, 11, v21
	v_dual_fmac_f32 v40, 0x3f167918, v20 :: v_dual_sub_f32 v21, v27, v34
	s_delay_alu instid0(VALU_DEP_3) | instskip(NEXT) | instid1(VALU_DEP_3)
	v_dual_sub_f32 v27, v35, v26 :: v_dual_add_f32 v18, v38, v44
	v_mul_lo_u16 v28, v45, 10
	s_delay_alu instid0(VALU_DEP_3) | instskip(SKIP_1) | instid1(VALU_DEP_3)
	v_add_f32_e32 v20, v37, v40
	v_sub_f32_e32 v30, v37, v40
	v_sub_nc_u16 v31, v3, v28
	s_delay_alu instid0(VALU_DEP_1) | instskip(SKIP_1) | instid1(VALU_DEP_2)
	v_dual_sub_f32 v24, v36, v42 :: v_dual_and_b32 v39, 0xff, v31
	v_mad_u32_u24 v31, 0x48, v3, v0
	v_mul_u32_u24_e32 v32, 9, v39
	v_sub_f32_e32 v26, v33, v43
	v_mul_u32_u24_e32 v43, 9, v3
	s_delay_alu instid0(VALU_DEP_1)
	v_dual_sub_f32 v28, v38, v44 :: v_dual_lshlrev_b32 v51, 3, v43
	ds_store_2addr_b64 v31, v[11:12], v[13:14] offset1:1
	ds_store_2addr_b64 v31, v[15:16], v[17:18] offset0:2 offset1:3
	ds_store_2addr_b64 v31, v[19:20], v[21:22] offset0:4 offset1:5
	;; [unrolled: 1-line block ×4, first 2 shown]
	v_lshlrev_b32_e32 v27, 3, v32
	global_wb scope:SCOPE_SE
	s_wait_dscnt 0x0
	s_barrier_signal -1
	s_barrier_wait -1
	global_inv scope:SCOPE_SE
	s_clause 0x4
	global_load_b128 v[11:14], v27, s[8:9]
	global_load_b128 v[15:18], v27, s[8:9] offset:16
	global_load_b128 v[19:22], v27, s[8:9] offset:32
	;; [unrolled: 1-line block ×3, first 2 shown]
	global_load_b64 v[47:48], v27, s[8:9] offset:64
	ds_load_2addr_b64 v[27:30], v0 offset1:100
	ds_load_2addr_b64 v[31:34], v10 offset0:72 offset1:172
	ds_load_2addr_b64 v[35:38], v9 offset0:144 offset1:244
	v_and_b32_e32 v40, 0xffff, v45
	v_lshlrev_b32_e32 v50, 3, v39
	ds_load_2addr_b64 v[43:46], v7 offset0:32 offset1:132
	s_wait_loadcnt_dscnt 0x302
	v_mul_f32_e32 v53, v16, v34
	s_wait_loadcnt_dscnt 0x201
	v_mul_f32_e32 v55, v20, v38
	v_mul_u32_u24_e32 v49, 0x320, v40
	ds_load_2addr_b64 v[39:42], v8 offset0:88 offset1:188
	v_dual_mul_f32 v52, v14, v32 :: v_dual_fmac_f32 v53, v15, v33
	v_dual_mul_f32 v14, v14, v31 :: v_dual_fmac_f32 v55, v19, v37
	s_wait_loadcnt_dscnt 0x1
	s_delay_alu instid0(VALU_DEP_2)
	v_dual_mul_f32 v59, v46, v48 :: v_dual_fmac_f32 v52, v13, v31
	v_mul_f32_e32 v16, v16, v33
	global_wb scope:SCOPE_SE
	s_wait_dscnt 0x0
	s_barrier_signal -1
	v_fmac_f32_e32 v59, v45, v47
	s_barrier_wait -1
	global_inv scope:SCOPE_SE
	v_mul_f32_e32 v57, v42, v24
	v_add3_u32 v49, 0, v49, v50
	v_mul_f32_e32 v50, v12, v30
	s_delay_alu instid0(VALU_DEP_3) | instskip(NEXT) | instid1(VALU_DEP_2)
	v_dual_mul_f32 v12, v12, v29 :: v_dual_fmac_f32 v57, v41, v23
	v_fmac_f32_e32 v50, v11, v29
	s_delay_alu instid0(VALU_DEP_2)
	v_fma_f32 v29, v11, v30, -v12
	v_fma_f32 v11, v13, v32, -v14
	v_mul_f32_e32 v54, v18, v36
	v_mul_f32_e32 v18, v18, v35
	;; [unrolled: 1-line block ×5, first 2 shown]
	v_fma_f32 v12, v15, v34, -v16
	v_add_f32_e32 v31, v28, v11
	v_fma_f32 v14, v19, v38, -v20
	v_add_f32_e32 v19, v27, v52
	v_fma_f32 v13, v17, v36, -v18
	v_mul_f32_e32 v56, v40, v22
	v_mul_f32_e32 v22, v39, v22
	v_dual_fmac_f32 v54, v17, v35 :: v_dual_sub_f32 v61, v12, v14
	s_delay_alu instid0(VALU_DEP_4) | instskip(NEXT) | instid1(VALU_DEP_4)
	v_sub_f32_e32 v35, v11, v13
	v_fmac_f32_e32 v56, v39, v21
	v_add_f32_e32 v39, v50, v53
	v_fma_f32 v17, v44, v25, -v26
	v_mul_f32_e32 v24, v41, v24
	v_fma_f32 v15, v40, v21, -v22
	v_add_f32_e32 v19, v19, v54
	s_delay_alu instid0(VALU_DEP_4) | instskip(SKIP_4) | instid1(VALU_DEP_4)
	v_add_f32_e32 v37, v11, v17
	v_fmac_f32_e32 v58, v43, v25
	v_mul_f32_e32 v48, v45, v48
	v_dual_sub_f32 v43, v53, v55 :: v_dual_add_f32 v20, v54, v56
	v_add_f32_e32 v45, v53, v59
	v_add_f32_e32 v25, v52, v58
	s_delay_alu instid0(VALU_DEP_4) | instskip(SKIP_3) | instid1(VALU_DEP_4)
	v_fma_f32 v18, v46, v47, -v48
	v_sub_f32_e32 v47, v57, v59
	v_fma_f32 v16, v42, v23, -v24
	v_dual_sub_f32 v21, v11, v17 :: v_dual_sub_f32 v22, v13, v15
	v_dual_add_f32 v63, v12, v18 :: v_dual_sub_f32 v24, v58, v56
	v_dual_sub_f32 v30, v56, v58 :: v_dual_sub_f32 v11, v13, v11
	v_sub_f32_e32 v38, v15, v17
	v_dual_sub_f32 v34, v54, v56 :: v_dual_sub_f32 v41, v12, v18
	v_dual_sub_f32 v23, v52, v54 :: v_dual_sub_f32 v26, v54, v52
	v_add_f32_e32 v32, v13, v15
	v_fma_f32 v54, -0.5, v20, v27
	v_add_f32_e32 v13, v31, v13
	v_dual_sub_f32 v33, v52, v58 :: v_dual_add_f32 v40, v55, v57
	v_sub_f32_e32 v42, v14, v16
	v_add_f32_e32 v19, v19, v56
	s_delay_alu instid0(VALU_DEP_4)
	v_dual_add_f32 v13, v13, v15 :: v_dual_sub_f32 v46, v55, v53
	v_dual_sub_f32 v53, v53, v59 :: v_dual_add_f32 v20, v23, v24
	v_add_f32_e32 v23, v26, v30
	v_fma_f32 v30, -0.5, v32, v28
	v_fma_f32 v28, -0.5, v37, v28
	v_dual_fmamk_f32 v37, v21, 0xbf737871, v54 :: v_dual_sub_f32 v44, v59, v57
	v_sub_f32_e32 v60, v55, v57
	v_fma_f32 v24, -0.5, v25, v27
	v_fma_f32 v27, -0.5, v40, v50
	s_delay_alu instid0(VALU_DEP_4) | instskip(SKIP_2) | instid1(VALU_DEP_2)
	v_dual_fmac_f32 v37, 0xbf167918, v22 :: v_dual_add_f32 v52, v14, v16
	v_dual_add_f32 v26, v39, v55 :: v_dual_fmamk_f32 v39, v33, 0x3f737871, v30
	v_dual_sub_f32 v36, v17, v15 :: v_dual_add_f32 v31, v43, v44
	v_dual_add_f32 v48, v29, v12 :: v_dual_add_f32 v15, v26, v57
	s_delay_alu instid0(VALU_DEP_2)
	v_dual_sub_f32 v64, v16, v18 :: v_dual_add_f32 v25, v35, v36
	v_fmamk_f32 v26, v41, 0xbf737871, v27
	v_fmac_f32_e32 v27, 0x3f737871, v41
	v_fma_f32 v35, -0.5, v52, v29
	v_dual_fmac_f32 v29, -0.5, v63 :: v_dual_sub_f32 v12, v14, v12
	v_dual_add_f32 v19, v19, v58 :: v_dual_fmac_f32 v50, -0.5, v45
	v_add_f32_e32 v17, v13, v17
	v_fmac_f32_e32 v37, 0x3e9e377a, v20
	s_delay_alu instid0(VALU_DEP_4) | instskip(SKIP_3) | instid1(VALU_DEP_4)
	v_fmamk_f32 v44, v60, 0xbf737871, v29
	v_dual_add_f32 v14, v48, v14 :: v_dual_add_f32 v13, v15, v59
	v_dual_add_f32 v12, v12, v64 :: v_dual_fmac_f32 v27, 0x3f167918, v42
	v_fmac_f32_e32 v29, 0x3f737871, v60
	v_fmac_f32_e32 v44, 0x3f167918, v53
	s_delay_alu instid0(VALU_DEP_4) | instskip(SKIP_1) | instid1(VALU_DEP_4)
	v_add_f32_e32 v14, v14, v16
	v_fmac_f32_e32 v26, 0xbf167918, v42
	v_dual_sub_f32 v62, v18, v16 :: v_dual_fmac_f32 v29, 0xbf167918, v53
	s_delay_alu instid0(VALU_DEP_4) | instskip(SKIP_2) | instid1(VALU_DEP_4)
	v_fmac_f32_e32 v44, 0x3e9e377a, v12
	v_dual_fmac_f32 v30, 0xbf737871, v33 :: v_dual_add_f32 v11, v11, v38
	v_fmamk_f32 v43, v42, 0x3f737871, v50
	v_dual_fmac_f32 v26, 0x3e9e377a, v31 :: v_dual_fmac_f32 v29, 0x3e9e377a, v12
	v_fmamk_f32 v40, v34, 0xbf737871, v28
	s_delay_alu instid0(VALU_DEP_4)
	v_fmac_f32_e32 v30, 0xbf167918, v34
	v_dual_add_f32 v32, v46, v47 :: v_dual_fmac_f32 v39, 0x3f167918, v34
	v_fmamk_f32 v16, v53, 0x3f737871, v35
	v_dual_fmac_f32 v35, 0xbf737871, v53 :: v_dual_add_f32 v36, v61, v62
	v_fmac_f32_e32 v43, 0xbf167918, v41
	v_dual_fmac_f32 v30, 0x3e9e377a, v25 :: v_dual_fmac_f32 v27, 0x3e9e377a, v31
	v_mul_f32_e32 v31, 0xbf737871, v29
	v_fmac_f32_e32 v40, 0x3f167918, v33
	v_dual_add_f32 v14, v14, v18 :: v_dual_fmac_f32 v39, 0x3e9e377a, v25
	v_fmac_f32_e32 v43, 0x3e9e377a, v32
	v_mul_f32_e32 v25, 0xbf737871, v44
	s_delay_alu instid0(VALU_DEP_4) | instskip(SKIP_2) | instid1(VALU_DEP_4)
	v_fmac_f32_e32 v40, 0x3e9e377a, v11
	v_fmamk_f32 v38, v22, 0x3f737871, v24
	v_dual_fmac_f32 v35, 0xbf167918, v60 :: v_dual_add_f32 v12, v17, v14
	v_fmac_f32_e32 v25, 0x3e9e377a, v43
	v_fmac_f32_e32 v28, 0x3f737871, v34
	v_sub_f32_e32 v14, v17, v14
	v_fmac_f32_e32 v24, 0xbf737871, v22
	v_fmac_f32_e32 v35, 0x3e9e377a, v36
	v_mul_f32_e32 v34, 0x3e9e377a, v44
	v_fmac_f32_e32 v28, 0xbf167918, v33
	s_delay_alu instid0(VALU_DEP_2) | instskip(NEXT) | instid1(VALU_DEP_2)
	v_fmac_f32_e32 v34, 0x3f737871, v43
	v_dual_fmac_f32 v28, 0x3e9e377a, v11 :: v_dual_add_f32 v11, v19, v13
	v_fmac_f32_e32 v38, 0xbf167918, v21
	s_delay_alu instid0(VALU_DEP_3) | instskip(NEXT) | instid1(VALU_DEP_2)
	v_dual_sub_f32 v13, v19, v13 :: v_dual_add_f32 v18, v40, v34
	v_fmac_f32_e32 v38, 0x3e9e377a, v23
	s_delay_alu instid0(VALU_DEP_1) | instskip(SKIP_1) | instid1(VALU_DEP_1)
	v_add_f32_e32 v17, v38, v25
	v_dual_sub_f32 v25, v38, v25 :: v_dual_fmac_f32 v16, 0x3f167918, v60
	v_fmac_f32_e32 v16, 0x3e9e377a, v36
	s_delay_alu instid0(VALU_DEP_1) | instskip(NEXT) | instid1(VALU_DEP_1)
	v_mul_f32_e32 v33, 0x3f4f1bbd, v16
	v_dual_fmac_f32 v24, 0x3f167918, v21 :: v_dual_fmac_f32 v33, 0x3f167918, v26
	s_delay_alu instid0(VALU_DEP_1) | instskip(NEXT) | instid1(VALU_DEP_2)
	v_fmac_f32_e32 v24, 0x3e9e377a, v23
	v_dual_mul_f32 v23, 0xbf167918, v16 :: v_dual_add_f32 v16, v39, v33
	s_delay_alu instid0(VALU_DEP_1) | instskip(SKIP_1) | instid1(VALU_DEP_2)
	v_fmac_f32_e32 v23, 0x3f4f1bbd, v26
	v_fmac_f32_e32 v54, 0x3f737871, v21
	v_dual_sub_f32 v26, v40, v34 :: v_dual_add_f32 v15, v37, v23
	s_delay_alu instid0(VALU_DEP_2) | instskip(NEXT) | instid1(VALU_DEP_1)
	v_dual_fmac_f32 v54, 0x3f167918, v22 :: v_dual_sub_f32 v23, v37, v23
	v_fmac_f32_e32 v54, 0x3e9e377a, v20
	v_fmac_f32_e32 v50, 0xbf737871, v42
	s_delay_alu instid0(VALU_DEP_1) | instskip(NEXT) | instid1(VALU_DEP_1)
	v_fmac_f32_e32 v50, 0x3f167918, v41
	v_fmac_f32_e32 v50, 0x3e9e377a, v32
	v_mul_f32_e32 v36, 0xbe9e377a, v29
	v_mul_f32_e32 v32, 0xbf167918, v35
	;; [unrolled: 1-line block ×3, first 2 shown]
	s_delay_alu instid0(VALU_DEP_4) | instskip(NEXT) | instid1(VALU_DEP_4)
	v_fmac_f32_e32 v31, 0xbe9e377a, v50
	v_fmac_f32_e32 v36, 0x3f737871, v50
	s_delay_alu instid0(VALU_DEP_4) | instskip(NEXT) | instid1(VALU_DEP_4)
	v_fmac_f32_e32 v32, 0xbf4f1bbd, v27
	v_fmac_f32_e32 v35, 0x3f167918, v27
	s_delay_alu instid0(VALU_DEP_4) | instskip(NEXT) | instid1(VALU_DEP_4)
	v_add_f32_e32 v19, v24, v31
	v_add_f32_e32 v20, v28, v36
	s_delay_alu instid0(VALU_DEP_4) | instskip(NEXT) | instid1(VALU_DEP_4)
	v_add_f32_e32 v21, v54, v32
	v_add_f32_e32 v22, v30, v35
	v_dual_sub_f32 v27, v24, v31 :: v_dual_sub_f32 v24, v39, v33
	v_sub_f32_e32 v29, v54, v32
	v_sub_f32_e32 v28, v28, v36
	;; [unrolled: 1-line block ×3, first 2 shown]
	ds_store_2addr_b64 v49, v[11:12], v[15:16] offset1:10
	ds_store_2addr_b64 v49, v[17:18], v[19:20] offset0:20 offset1:30
	ds_store_2addr_b64 v49, v[21:22], v[13:14] offset0:40 offset1:50
	;; [unrolled: 1-line block ×4, first 2 shown]
	global_wb scope:SCOPE_SE
	s_wait_dscnt 0x0
	s_barrier_signal -1
	s_barrier_wait -1
	global_inv scope:SCOPE_SE
	s_clause 0x4
	global_load_b128 v[11:14], v51, s[8:9] offset:720
	global_load_b128 v[15:18], v51, s[8:9] offset:736
	;; [unrolled: 1-line block ×4, first 2 shown]
	global_load_b64 v[47:48], v51, s[8:9] offset:784
	ds_load_2addr_b64 v[27:30], v0 offset1:100
	ds_load_2addr_b64 v[31:34], v10 offset0:72 offset1:172
	ds_load_2addr_b64 v[35:38], v9 offset0:144 offset1:244
	;; [unrolled: 1-line block ×4, first 2 shown]
	global_wb scope:SCOPE_SE
	s_wait_loadcnt_dscnt 0x0
	s_barrier_signal -1
	s_barrier_wait -1
	global_inv scope:SCOPE_SE
	v_mul_f32_e32 v49, v12, v30
	v_mul_f32_e32 v51, v16, v34
	;; [unrolled: 1-line block ×4, first 2 shown]
	v_dual_mul_f32 v57, v46, v48 :: v_dual_mul_f32 v54, v40, v22
	v_mul_f32_e32 v56, v44, v26
	v_dual_mul_f32 v48, v45, v48 :: v_dual_fmac_f32 v49, v11, v29
	v_fmac_f32_e32 v51, v15, v33
	v_mul_f32_e32 v12, v12, v29
	v_dual_fmac_f32 v53, v19, v37 :: v_dual_mul_f32 v50, v14, v32
	v_fmac_f32_e32 v55, v41, v23
	v_fmac_f32_e32 v57, v45, v47
	v_mul_f32_e32 v14, v14, v31
	v_mul_f32_e32 v52, v18, v36
	;; [unrolled: 1-line block ×3, first 2 shown]
	v_fmac_f32_e32 v54, v39, v21
	v_fmac_f32_e32 v56, v43, v25
	v_add_f32_e32 v45, v51, v57
	v_dual_mul_f32 v22, v39, v22 :: v_dual_add_f32 v39, v49, v51
	v_fma_f32 v29, v11, v30, -v12
	v_mul_f32_e32 v26, v43, v26
	v_fma_f32 v11, v13, v32, -v14
	v_dual_sub_f32 v43, v51, v53 :: v_dual_fmac_f32 v50, v13, v31
	v_fma_f32 v13, v17, v36, -v18
	v_fma_f32 v18, v46, v47, -v48
	v_dual_sub_f32 v47, v55, v57 :: v_dual_fmac_f32 v52, v17, v35
	v_fma_f32 v17, v44, v25, -v26
	v_dual_sub_f32 v30, v54, v56 :: v_dual_add_f32 v31, v28, v11
	s_delay_alu instid0(VALU_DEP_3) | instskip(SKIP_1) | instid1(VALU_DEP_4)
	v_dual_sub_f32 v35, v11, v13 :: v_dual_sub_f32 v26, v52, v50
	v_mul_f32_e32 v20, v20, v37
	v_dual_add_f32 v37, v11, v17 :: v_dual_sub_f32 v44, v57, v55
	v_dual_sub_f32 v46, v53, v51 :: v_dual_sub_f32 v51, v51, v57
	s_delay_alu instid0(VALU_DEP_3) | instskip(SKIP_1) | instid1(VALU_DEP_1)
	v_fma_f32 v14, v19, v38, -v20
	v_dual_add_f32 v19, v27, v50 :: v_dual_mul_f32 v16, v16, v33
	v_add_f32_e32 v19, v19, v52
	s_delay_alu instid0(VALU_DEP_2)
	v_fma_f32 v12, v15, v34, -v16
	v_mul_f32_e32 v24, v41, v24
	v_fma_f32 v15, v40, v21, -v22
	v_sub_f32_e32 v21, v11, v17
	v_sub_f32_e32 v11, v13, v11
	v_sub_f32_e32 v59, v12, v14
	v_fma_f32 v16, v42, v23, -v24
	v_dual_sub_f32 v22, v13, v15 :: v_dual_sub_f32 v41, v12, v18
	v_sub_f32_e32 v58, v53, v55
	v_sub_f32_e32 v36, v17, v15
	s_delay_alu instid0(VALU_DEP_4) | instskip(SKIP_3) | instid1(VALU_DEP_3)
	v_sub_f32_e32 v42, v14, v16
	v_dual_add_f32 v32, v13, v15 :: v_dual_add_f32 v13, v31, v13
	v_add_f32_e32 v31, v43, v44
	v_add_f32_e32 v61, v12, v18
	;; [unrolled: 1-line block ×4, first 2 shown]
	v_sub_f32_e32 v38, v15, v17
	v_add_f32_e32 v20, v52, v54
	v_sub_f32_e32 v24, v56, v54
	v_dual_sub_f32 v34, v52, v54 :: v_dual_add_f32 v17, v13, v17
	s_delay_alu instid0(VALU_DEP_4) | instskip(SKIP_2) | instid1(VALU_DEP_2)
	v_add_f32_e32 v11, v11, v38
	v_sub_f32_e32 v23, v50, v52
	v_fma_f32 v52, -0.5, v20, v27
	v_dual_add_f32 v20, v23, v24 :: v_dual_add_f32 v23, v26, v30
	v_add_f32_e32 v26, v39, v53
	s_delay_alu instid0(VALU_DEP_1) | instskip(SKIP_3) | instid1(VALU_DEP_4)
	v_add_f32_e32 v15, v26, v55
	v_dual_add_f32 v25, v50, v56 :: v_dual_add_f32 v40, v53, v55
	v_add_f32_e32 v19, v19, v56
	v_sub_f32_e32 v33, v50, v56
	v_add_f32_e32 v13, v15, v57
	s_delay_alu instid0(VALU_DEP_4) | instskip(SKIP_2) | instid1(VALU_DEP_3)
	v_fma_f32 v24, -0.5, v25, v27
	v_fma_f32 v27, -0.5, v40, v49
	v_fmac_f32_e32 v49, -0.5, v45
	v_dual_add_f32 v25, v35, v36 :: v_dual_fmamk_f32 v38, v22, 0x3f737871, v24
	s_delay_alu instid0(VALU_DEP_3) | instskip(NEXT) | instid1(VALU_DEP_3)
	v_fmamk_f32 v26, v41, 0xbf737871, v27
	v_fmamk_f32 v43, v42, 0x3f737871, v49
	v_add_f32_e32 v50, v14, v16
	v_fma_f32 v30, -0.5, v32, v28
	v_dual_fmac_f32 v27, 0x3f737871, v41 :: v_dual_add_f32 v48, v29, v12
	v_fmac_f32_e32 v49, 0xbf737871, v42
	v_fmac_f32_e32 v43, 0xbf167918, v41
	v_fma_f32 v35, -0.5, v50, v29
	s_delay_alu instid0(VALU_DEP_4)
	v_fmac_f32_e32 v27, 0x3f167918, v42
	v_fmac_f32_e32 v29, -0.5, v61
	v_fma_f32 v28, -0.5, v37, v28
	v_fmamk_f32 v37, v21, 0xbf737871, v52
	v_fmamk_f32 v39, v33, 0x3f737871, v30
	v_fmac_f32_e32 v49, 0x3f167918, v41
	v_fmamk_f32 v44, v58, 0xbf737871, v29
	v_dual_fmac_f32 v29, 0x3f737871, v58 :: v_dual_sub_f32 v12, v14, v12
	v_add_f32_e32 v14, v48, v14
	v_dual_sub_f32 v60, v18, v16 :: v_dual_fmac_f32 v37, 0xbf167918, v22
	v_sub_f32_e32 v62, v16, v18
	v_fmac_f32_e32 v26, 0xbf167918, v42
	s_delay_alu instid0(VALU_DEP_4)
	v_add_f32_e32 v14, v14, v16
	v_fmamk_f32 v16, v51, 0x3f737871, v35
	v_fmac_f32_e32 v35, 0xbf737871, v51
	v_fmac_f32_e32 v39, 0x3f167918, v34
	;; [unrolled: 1-line block ×7, first 2 shown]
	v_dual_fmac_f32 v37, 0x3e9e377a, v20 :: v_dual_add_f32 v12, v12, v62
	v_fmac_f32_e32 v26, 0x3e9e377a, v31
	v_fmac_f32_e32 v16, 0x3f167918, v58
	;; [unrolled: 1-line block ×3, first 2 shown]
	s_delay_alu instid0(VALU_DEP_4) | instskip(NEXT) | instid1(VALU_DEP_1)
	v_fmac_f32_e32 v29, 0x3e9e377a, v12
	v_dual_add_f32 v36, v59, v60 :: v_dual_mul_f32 v31, 0xbf737871, v29
	s_delay_alu instid0(VALU_DEP_1) | instskip(SKIP_2) | instid1(VALU_DEP_3)
	v_dual_add_f32 v32, v46, v47 :: v_dual_fmac_f32 v35, 0x3e9e377a, v36
	v_fmac_f32_e32 v16, 0x3e9e377a, v36
	v_mul_f32_e32 v36, 0xbe9e377a, v29
	v_fmac_f32_e32 v49, 0x3e9e377a, v32
	v_fmac_f32_e32 v44, 0x3e9e377a, v12
	;; [unrolled: 1-line block ×4, first 2 shown]
	v_mul_f32_e32 v32, 0xbf167918, v35
	v_fmac_f32_e32 v31, 0xbe9e377a, v49
	v_fmamk_f32 v40, v34, 0xbf737871, v28
	v_fmac_f32_e32 v30, 0xbf167918, v34
	v_mul_f32_e32 v35, 0xbf4f1bbd, v35
	v_fmac_f32_e32 v32, 0xbf4f1bbd, v27
	v_add_f32_e32 v14, v14, v18
	v_fmac_f32_e32 v40, 0x3f167918, v33
	v_fmac_f32_e32 v30, 0x3e9e377a, v25
	v_mul_f32_e32 v25, 0xbf737871, v44
	v_fmac_f32_e32 v36, 0x3f737871, v49
	v_fmac_f32_e32 v35, 0x3f167918, v27
	;; [unrolled: 1-line block ×3, first 2 shown]
	s_delay_alu instid0(VALU_DEP_4) | instskip(SKIP_2) | instid1(VALU_DEP_2)
	v_fmac_f32_e32 v25, 0x3e9e377a, v43
	v_fmac_f32_e32 v28, 0x3f737871, v34
	v_mul_f32_e32 v34, 0x3e9e377a, v44
	v_fmac_f32_e32 v28, 0xbf167918, v33
	v_mul_f32_e32 v33, 0x3f4f1bbd, v16
	s_delay_alu instid0(VALU_DEP_3)
	v_fmac_f32_e32 v34, 0x3f737871, v43
	v_add_f32_e32 v12, v17, v14
	v_sub_f32_e32 v14, v17, v14
	v_dual_fmac_f32 v28, 0x3e9e377a, v11 :: v_dual_add_f32 v11, v19, v13
	v_fmac_f32_e32 v38, 0xbf167918, v21
	v_sub_f32_e32 v13, v19, v13
	v_dual_fmac_f32 v24, 0x3f167918, v21 :: v_dual_fmac_f32 v33, 0x3f167918, v26
	v_add_f32_e32 v18, v40, v34
	s_delay_alu instid0(VALU_DEP_4) | instskip(NEXT) | instid1(VALU_DEP_3)
	v_fmac_f32_e32 v38, 0x3e9e377a, v23
	v_fmac_f32_e32 v24, 0x3e9e377a, v23
	s_delay_alu instid0(VALU_DEP_4) | instskip(NEXT) | instid1(VALU_DEP_3)
	v_dual_mul_f32 v23, 0xbf167918, v16 :: v_dual_add_f32 v16, v39, v33
	v_add_f32_e32 v17, v38, v25
	v_sub_f32_e32 v25, v38, v25
	s_delay_alu instid0(VALU_DEP_4) | instskip(NEXT) | instid1(VALU_DEP_4)
	v_add_f32_e32 v19, v24, v31
	v_fmac_f32_e32 v23, 0x3f4f1bbd, v26
	v_dual_fmac_f32 v52, 0x3f737871, v21 :: v_dual_sub_f32 v27, v24, v31
	v_sub_f32_e32 v24, v39, v33
	s_delay_alu instid0(VALU_DEP_3) | instskip(NEXT) | instid1(VALU_DEP_3)
	v_dual_sub_f32 v26, v40, v34 :: v_dual_add_f32 v15, v37, v23
	v_fmac_f32_e32 v52, 0x3f167918, v22
	v_add_f32_e32 v22, v30, v35
	v_sub_f32_e32 v23, v37, v23
	v_sub_f32_e32 v30, v30, v35
	s_delay_alu instid0(VALU_DEP_4) | instskip(SKIP_2) | instid1(VALU_DEP_3)
	v_fmac_f32_e32 v52, 0x3e9e377a, v20
	v_add_f32_e32 v20, v28, v36
	v_sub_f32_e32 v28, v28, v36
	v_add_f32_e32 v21, v52, v32
	v_sub_f32_e32 v29, v52, v32
	ds_store_2addr_b64 v0, v[11:12], v[15:16] offset1:100
	ds_store_2addr_b64 v10, v[17:18], v[19:20] offset0:72 offset1:172
	ds_store_2addr_b64 v9, v[21:22], v[13:14] offset0:144 offset1:244
	;; [unrolled: 1-line block ×4, first 2 shown]
	global_wb scope:SCOPE_SE
	s_wait_dscnt 0x0
	s_barrier_signal -1
	s_barrier_wait -1
	global_inv scope:SCOPE_SE
	ds_load_b64 v[9:10], v0
	v_sub_nc_u32_e32 v13, 0, v4
                                        ; implicit-def: $vgpr7
                                        ; implicit-def: $vgpr14
                                        ; implicit-def: $vgpr15
                                        ; implicit-def: $vgpr11_vgpr12
	v_cmpx_ne_u32_e32 0, v3
	s_wait_alu 0xfffe
	s_xor_b32 s1, exec_lo, s1
	s_cbranch_execz .LBB0_15
; %bb.14:
	ds_load_b64 v[11:12], v13 offset:8000
	s_wait_dscnt 0x0
	v_dual_mov_b32 v4, 0 :: v_dual_add_f32 v15, v12, v10
	s_delay_alu instid0(VALU_DEP_1) | instskip(SKIP_2) | instid1(VALU_DEP_2)
	v_lshlrev_b64_e32 v[7:8], 3, v[3:4]
	v_dual_sub_f32 v14, v9, v11 :: v_dual_add_f32 v9, v11, v9
	v_sub_f32_e32 v10, v10, v12
	v_mul_f32_e32 v12, 0.5, v14
	s_delay_alu instid0(VALU_DEP_4)
	v_add_co_u32 v7, s0, s8, v7
	s_wait_alu 0xf1ff
	v_add_co_ci_u32_e64 v8, s0, s9, v8, s0
	v_mul_f32_e32 v10, 0.5, v10
	global_load_b64 v[7:8], v[7:8], off offset:7920
	s_wait_loadcnt 0x0
	v_dual_mul_f32 v16, 0.5, v15 :: v_dual_mul_f32 v11, v8, v12
	s_delay_alu instid0(VALU_DEP_1) | instskip(SKIP_1) | instid1(VALU_DEP_3)
	v_fma_f32 v15, v16, v8, v10
	v_fma_f32 v8, v16, v8, -v10
	v_fma_f32 v14, 0.5, v9, v11
	v_fma_f32 v9, v9, 0.5, -v11
	s_delay_alu instid0(VALU_DEP_4) | instskip(NEXT) | instid1(VALU_DEP_4)
	v_fma_f32 v15, -v7, v12, v15
	v_fma_f32 v8, -v7, v12, v8
	v_mov_b32_e32 v12, v4
	v_fmac_f32_e32 v14, v7, v16
	v_fma_f32 v7, -v7, v16, v9
	v_mov_b32_e32 v11, v3
                                        ; implicit-def: $vgpr9_vgpr10
.LBB0_15:
	s_wait_alu 0xfffe
	s_and_not1_saveexec_b32 s0, s1
	s_cbranch_execz .LBB0_17
; %bb.16:
	s_wait_dscnt 0x0
	v_dual_mov_b32 v15, 0 :: v_dual_add_f32 v14, v9, v10
	v_dual_mov_b32 v11, 0 :: v_dual_mov_b32 v8, 0
	v_dual_sub_f32 v7, v9, v10 :: v_dual_mov_b32 v12, 0
	ds_load_b32 v4, v15 offset:4004
	s_wait_dscnt 0x0
	v_xor_b32_e32 v4, 0x80000000, v4
	ds_store_b32 v15, v4 offset:4004
.LBB0_17:
	s_wait_alu 0xfffe
	s_or_b32 exec_lo, exec_lo, s0
	s_wait_dscnt 0x0
	v_lshlrev_b64_e32 v[9:10], 3, v[11:12]
	s_add_nc_u64 s[0:1], s[8:9], 0x1ef0
	s_wait_alu 0xfffe
	s_delay_alu instid0(VALU_DEP_1) | instskip(SKIP_1) | instid1(VALU_DEP_2)
	v_add_co_u32 v9, s0, s0, v9
	s_wait_alu 0xf1ff
	v_add_co_ci_u32_e64 v10, s0, s1, v10, s0
	s_clause 0x3
	global_load_b64 v[11:12], v[9:10], off offset:800
	global_load_b64 v[16:17], v[9:10], off offset:1600
	;; [unrolled: 1-line block ×4, first 2 shown]
	ds_store_2addr_b32 v0, v14, v15 offset1:1
	ds_store_b64 v13, v[7:8] offset:8000
	ds_load_b64 v[7:8], v0 offset:800
	ds_load_b64 v[14:15], v13 offset:7200
	s_wait_dscnt 0x0
	v_add_f32_e32 v20, v8, v15
	v_sub_f32_e32 v4, v7, v14
	v_dual_sub_f32 v8, v8, v15 :: v_dual_add_f32 v7, v7, v14
	s_delay_alu instid0(VALU_DEP_3) | instskip(NEXT) | instid1(VALU_DEP_3)
	v_mul_f32_e32 v15, 0.5, v20
	v_mul_f32_e32 v4, 0.5, v4
	s_delay_alu instid0(VALU_DEP_3) | instskip(SKIP_1) | instid1(VALU_DEP_2)
	v_mul_f32_e32 v8, 0.5, v8
	s_wait_loadcnt 0x3
	v_mul_f32_e32 v14, v12, v4
	s_delay_alu instid0(VALU_DEP_2) | instskip(SKIP_1) | instid1(VALU_DEP_3)
	v_fma_f32 v20, v15, v12, v8
	v_fma_f32 v8, v15, v12, -v8
	v_fma_f32 v12, 0.5, v7, v14
	v_fma_f32 v7, v7, 0.5, -v14
	s_delay_alu instid0(VALU_DEP_4) | instskip(NEXT) | instid1(VALU_DEP_4)
	v_fma_f32 v14, -v11, v4, v20
	v_fma_f32 v8, -v11, v4, v8
	s_delay_alu instid0(VALU_DEP_4) | instskip(NEXT) | instid1(VALU_DEP_4)
	v_fmac_f32_e32 v12, v11, v15
	v_fma_f32 v7, -v11, v15, v7
	ds_store_2addr_b32 v0, v12, v14 offset0:200 offset1:201
	ds_store_b64 v13, v[7:8] offset:7200
	ds_load_b64 v[7:8], v0 offset:1600
	ds_load_b64 v[11:12], v13 offset:6400
	s_wait_dscnt 0x0
	v_add_f32_e32 v14, v8, v12
	v_sub_f32_e32 v8, v8, v12
	s_delay_alu instid0(VALU_DEP_2) | instskip(SKIP_1) | instid1(VALU_DEP_3)
	v_mul_f32_e32 v12, 0.5, v14
	v_sub_f32_e32 v4, v7, v11
	v_dual_mul_f32 v8, 0.5, v8 :: v_dual_add_f32 v7, v7, v11
	s_delay_alu instid0(VALU_DEP_2) | instskip(SKIP_1) | instid1(VALU_DEP_2)
	v_mul_f32_e32 v4, 0.5, v4
	s_wait_loadcnt 0x2
	v_fma_f32 v14, v12, v17, v8
	v_fma_f32 v8, v12, v17, -v8
	s_delay_alu instid0(VALU_DEP_3) | instskip(NEXT) | instid1(VALU_DEP_3)
	v_mul_f32_e32 v11, v17, v4
	v_fma_f32 v14, -v16, v4, v14
	s_delay_alu instid0(VALU_DEP_3) | instskip(NEXT) | instid1(VALU_DEP_3)
	v_fma_f32 v8, -v16, v4, v8
	v_fma_f32 v15, 0.5, v7, v11
	v_fma_f32 v7, v7, 0.5, -v11
	v_add_nc_u32_e32 v11, 0x400, v0
	s_delay_alu instid0(VALU_DEP_3) | instskip(NEXT) | instid1(VALU_DEP_3)
	v_fmac_f32_e32 v15, v16, v12
	v_fma_f32 v7, -v16, v12, v7
	ds_store_2addr_b32 v11, v15, v14 offset0:144 offset1:145
	ds_store_b64 v13, v[7:8] offset:6400
	ds_load_b64 v[7:8], v0 offset:2400
	ds_load_b64 v[11:12], v13 offset:5600
	s_wait_dscnt 0x0
	v_sub_f32_e32 v4, v7, v11
	v_add_f32_e32 v14, v8, v12
	v_dual_sub_f32 v8, v8, v12 :: v_dual_add_f32 v7, v7, v11
	s_delay_alu instid0(VALU_DEP_3) | instskip(NEXT) | instid1(VALU_DEP_3)
	v_mul_f32_e32 v4, 0.5, v4
	v_mul_f32_e32 v12, 0.5, v14
	s_delay_alu instid0(VALU_DEP_3) | instskip(SKIP_1) | instid1(VALU_DEP_3)
	v_mul_f32_e32 v8, 0.5, v8
	s_wait_loadcnt 0x1
	v_mul_f32_e32 v11, v19, v4
	s_delay_alu instid0(VALU_DEP_2) | instskip(SKIP_1) | instid1(VALU_DEP_3)
	v_fma_f32 v14, v12, v19, v8
	v_fma_f32 v8, v12, v19, -v8
	v_fma_f32 v15, 0.5, v7, v11
	v_fma_f32 v7, v7, 0.5, -v11
	v_add_nc_u32_e32 v11, 0x800, v0
	v_fma_f32 v14, -v18, v4, v14
	v_fma_f32 v8, -v18, v4, v8
	v_fmac_f32_e32 v15, v18, v12
	v_fma_f32 v7, -v18, v12, v7
	ds_store_2addr_b32 v11, v15, v14 offset0:88 offset1:89
	ds_store_b64 v13, v[7:8] offset:5600
	ds_load_b64 v[7:8], v0 offset:3200
	ds_load_b64 v[11:12], v13 offset:4800
	v_add_nc_u32_e32 v0, 0xc00, v0
	s_wait_dscnt 0x0
	v_sub_f32_e32 v4, v7, v11
	v_add_f32_e32 v14, v8, v12
	v_dual_sub_f32 v8, v8, v12 :: v_dual_add_f32 v7, v7, v11
	s_delay_alu instid0(VALU_DEP_3) | instskip(NEXT) | instid1(VALU_DEP_3)
	v_mul_f32_e32 v4, 0.5, v4
	v_mul_f32_e32 v12, 0.5, v14
	s_delay_alu instid0(VALU_DEP_3) | instskip(SKIP_1) | instid1(VALU_DEP_3)
	v_mul_f32_e32 v8, 0.5, v8
	s_wait_loadcnt 0x0
	v_mul_f32_e32 v11, v10, v4
	s_delay_alu instid0(VALU_DEP_2) | instskip(SKIP_1) | instid1(VALU_DEP_3)
	v_fma_f32 v14, v12, v10, v8
	v_fma_f32 v8, v12, v10, -v8
	v_fma_f32 v10, 0.5, v7, v11
	v_fma_f32 v7, v7, 0.5, -v11
	s_delay_alu instid0(VALU_DEP_4) | instskip(NEXT) | instid1(VALU_DEP_4)
	v_fma_f32 v11, -v9, v4, v14
	v_fma_f32 v8, -v9, v4, v8
	s_delay_alu instid0(VALU_DEP_4) | instskip(NEXT) | instid1(VALU_DEP_4)
	v_fmac_f32_e32 v10, v9, v12
	v_fma_f32 v7, -v9, v12, v7
	ds_store_2addr_b32 v0, v10, v11 offset0:32 offset1:33
	ds_store_b64 v13, v[7:8] offset:4800
	global_wb scope:SCOPE_SE
	s_wait_dscnt 0x0
	s_barrier_signal -1
	s_barrier_wait -1
	global_inv scope:SCOPE_SE
	s_and_saveexec_b32 s0, vcc_lo
	s_cbranch_execz .LBB0_20
; %bb.18:
	v_mul_lo_u32 v0, s3, v5
	v_mul_lo_u32 v6, s2, v6
	v_mad_co_u64_u32 v[9:10], null, s2, v5, 0
	v_dual_mov_b32 v4, 0 :: v_dual_add_nc_u32 v11, 0x64, v3
	v_lshl_add_u32 v25, v3, 3, 0
	v_add_nc_u32_e32 v13, 0xc8, v3
	s_delay_alu instid0(VALU_DEP_3)
	v_dual_mov_b32 v12, v4 :: v_dual_add_nc_u32 v19, 0x12c, v3
	v_add3_u32 v10, v10, v6, v0
	v_lshlrev_b64_e32 v[0:1], 3, v[1:2]
	v_add_nc_u32_e32 v2, 0x400, v25
	ds_load_2addr_b64 v[5:8], v25 offset1:100
	v_lshlrev_b64_e32 v[15:16], 3, v[3:4]
	v_lshlrev_b64_e32 v[9:10], 3, v[9:10]
	v_mov_b32_e32 v14, v4
	v_lshlrev_b64_e32 v[17:18], 3, v[11:12]
	v_dual_mov_b32 v20, v4 :: v_dual_add_nc_u32 v21, 0x190, v3
	v_dual_mov_b32 v22, v4 :: v_dual_add_nc_u32 v23, 0x1f4, v3
	v_add_co_u32 v9, vcc_lo, s6, v9
	s_wait_alu 0xfffd
	v_add_co_ci_u32_e32 v10, vcc_lo, s7, v10, vcc_lo
	v_lshlrev_b64_e32 v[13:14], 3, v[13:14]
	s_delay_alu instid0(VALU_DEP_3) | instskip(SKIP_1) | instid1(VALU_DEP_3)
	v_add_co_u32 v0, vcc_lo, v9, v0
	s_wait_alu 0xfffd
	v_add_co_ci_u32_e32 v1, vcc_lo, v10, v1, vcc_lo
	ds_load_2addr_b64 v[9:12], v2 offset0:72 offset1:172
	v_add_co_u32 v15, vcc_lo, v0, v15
	s_wait_alu 0xfffd
	v_add_co_ci_u32_e32 v16, vcc_lo, v1, v16, vcc_lo
	v_add_co_u32 v17, vcc_lo, v0, v17
	v_lshlrev_b64_e32 v[19:20], 3, v[19:20]
	s_wait_alu 0xfffd
	v_add_co_ci_u32_e32 v18, vcc_lo, v1, v18, vcc_lo
	v_add_co_u32 v13, vcc_lo, v0, v13
	s_wait_alu 0xfffd
	v_add_co_ci_u32_e32 v14, vcc_lo, v1, v14, vcc_lo
	v_mov_b32_e32 v24, v4
	v_add_co_u32 v19, vcc_lo, v0, v19
	v_lshlrev_b64_e32 v[21:22], 3, v[21:22]
	s_wait_alu 0xfffd
	v_add_co_ci_u32_e32 v20, vcc_lo, v1, v20, vcc_lo
	v_add_nc_u32_e32 v2, 0x800, v25
	s_wait_dscnt 0x1
	s_clause 0x1
	global_store_b64 v[15:16], v[5:6], off
	global_store_b64 v[17:18], v[7:8], off
	s_wait_dscnt 0x0
	s_clause 0x1
	global_store_b64 v[13:14], v[9:10], off
	global_store_b64 v[19:20], v[11:12], off
	v_add_nc_u32_e32 v13, 0x258, v3
	v_lshlrev_b64_e32 v[9:10], 3, v[23:24]
	v_dual_mov_b32 v14, v4 :: v_dual_add_nc_u32 v15, 0x2bc, v3
	ds_load_2addr_b64 v[5:8], v2 offset0:144 offset1:244
	v_add_co_u32 v17, vcc_lo, v0, v21
	v_add_nc_u32_e32 v2, 0x1000, v25
	v_dual_mov_b32 v16, v4 :: v_dual_add_nc_u32 v21, 0x320, v3
	s_wait_alu 0xfffd
	v_add_co_ci_u32_e32 v18, vcc_lo, v1, v22, vcc_lo
	v_lshlrev_b64_e32 v[13:14], 3, v[13:14]
	v_add_co_u32 v19, vcc_lo, v0, v9
	v_dual_mov_b32 v22, v4 :: v_dual_add_nc_u32 v27, 0x384, v3
	s_wait_alu 0xfffd
	v_add_co_ci_u32_e32 v20, vcc_lo, v1, v10, vcc_lo
	ds_load_2addr_b64 v[9:12], v2 offset0:88 offset1:188
	v_add_nc_u32_e32 v2, 0x1800, v25
	v_lshlrev_b64_e32 v[25:26], 3, v[15:16]
	v_mov_b32_e32 v28, v4
	v_add_co_u32 v23, vcc_lo, v0, v13
	v_lshlrev_b64_e32 v[21:22], 3, v[21:22]
	s_wait_alu 0xfffd
	v_add_co_ci_u32_e32 v24, vcc_lo, v1, v14, vcc_lo
	ds_load_2addr_b64 v[13:16], v2 offset0:32 offset1:132
	v_add_co_u32 v25, vcc_lo, v0, v25
	v_lshlrev_b64_e32 v[27:28], 3, v[27:28]
	s_wait_alu 0xfffd
	v_add_co_ci_u32_e32 v26, vcc_lo, v1, v26, vcc_lo
	v_add_co_u32 v21, vcc_lo, v0, v21
	s_wait_alu 0xfffd
	v_add_co_ci_u32_e32 v22, vcc_lo, v1, v22, vcc_lo
	v_add_co_u32 v27, vcc_lo, v0, v27
	s_wait_alu 0xfffd
	v_add_co_ci_u32_e32 v28, vcc_lo, v1, v28, vcc_lo
	v_cmp_eq_u32_e32 vcc_lo, 0x63, v3
	s_wait_dscnt 0x2
	s_clause 0x1
	global_store_b64 v[17:18], v[5:6], off
	global_store_b64 v[19:20], v[7:8], off
	s_wait_dscnt 0x1
	s_clause 0x1
	global_store_b64 v[23:24], v[9:10], off
	global_store_b64 v[25:26], v[11:12], off
	;; [unrolled: 4-line block ×3, first 2 shown]
	s_and_b32 exec_lo, exec_lo, vcc_lo
	s_cbranch_execz .LBB0_20
; %bb.19:
	ds_load_b64 v[2:3], v4 offset:8000
	s_wait_dscnt 0x0
	global_store_b64 v[0:1], v[2:3], off offset:8000
.LBB0_20:
	s_nop 0
	s_sendmsg sendmsg(MSG_DEALLOC_VGPRS)
	s_endpgm
	.section	.rodata,"a",@progbits
	.p2align	6, 0x0
	.amdhsa_kernel fft_rtc_back_len1000_factors_10_10_10_wgs_100_tpt_100_halfLds_sp_op_CI_CI_unitstride_sbrr_R2C_dirReg
		.amdhsa_group_segment_fixed_size 0
		.amdhsa_private_segment_fixed_size 0
		.amdhsa_kernarg_size 104
		.amdhsa_user_sgpr_count 2
		.amdhsa_user_sgpr_dispatch_ptr 0
		.amdhsa_user_sgpr_queue_ptr 0
		.amdhsa_user_sgpr_kernarg_segment_ptr 1
		.amdhsa_user_sgpr_dispatch_id 0
		.amdhsa_user_sgpr_private_segment_size 0
		.amdhsa_wavefront_size32 1
		.amdhsa_uses_dynamic_stack 0
		.amdhsa_enable_private_segment 0
		.amdhsa_system_sgpr_workgroup_id_x 1
		.amdhsa_system_sgpr_workgroup_id_y 0
		.amdhsa_system_sgpr_workgroup_id_z 0
		.amdhsa_system_sgpr_workgroup_info 0
		.amdhsa_system_vgpr_workitem_id 0
		.amdhsa_next_free_vgpr 65
		.amdhsa_next_free_sgpr 39
		.amdhsa_reserve_vcc 1
		.amdhsa_float_round_mode_32 0
		.amdhsa_float_round_mode_16_64 0
		.amdhsa_float_denorm_mode_32 3
		.amdhsa_float_denorm_mode_16_64 3
		.amdhsa_fp16_overflow 0
		.amdhsa_workgroup_processor_mode 1
		.amdhsa_memory_ordered 1
		.amdhsa_forward_progress 0
		.amdhsa_round_robin_scheduling 0
		.amdhsa_exception_fp_ieee_invalid_op 0
		.amdhsa_exception_fp_denorm_src 0
		.amdhsa_exception_fp_ieee_div_zero 0
		.amdhsa_exception_fp_ieee_overflow 0
		.amdhsa_exception_fp_ieee_underflow 0
		.amdhsa_exception_fp_ieee_inexact 0
		.amdhsa_exception_int_div_zero 0
	.end_amdhsa_kernel
	.text
.Lfunc_end0:
	.size	fft_rtc_back_len1000_factors_10_10_10_wgs_100_tpt_100_halfLds_sp_op_CI_CI_unitstride_sbrr_R2C_dirReg, .Lfunc_end0-fft_rtc_back_len1000_factors_10_10_10_wgs_100_tpt_100_halfLds_sp_op_CI_CI_unitstride_sbrr_R2C_dirReg
                                        ; -- End function
	.section	.AMDGPU.csdata,"",@progbits
; Kernel info:
; codeLenInByte = 7472
; NumSgprs: 41
; NumVgprs: 65
; ScratchSize: 0
; MemoryBound: 0
; FloatMode: 240
; IeeeMode: 1
; LDSByteSize: 0 bytes/workgroup (compile time only)
; SGPRBlocks: 5
; VGPRBlocks: 8
; NumSGPRsForWavesPerEU: 41
; NumVGPRsForWavesPerEU: 65
; Occupancy: 16
; WaveLimiterHint : 1
; COMPUTE_PGM_RSRC2:SCRATCH_EN: 0
; COMPUTE_PGM_RSRC2:USER_SGPR: 2
; COMPUTE_PGM_RSRC2:TRAP_HANDLER: 0
; COMPUTE_PGM_RSRC2:TGID_X_EN: 1
; COMPUTE_PGM_RSRC2:TGID_Y_EN: 0
; COMPUTE_PGM_RSRC2:TGID_Z_EN: 0
; COMPUTE_PGM_RSRC2:TIDIG_COMP_CNT: 0
	.text
	.p2alignl 7, 3214868480
	.fill 96, 4, 3214868480
	.type	__hip_cuid_97d24597f6badc8e,@object ; @__hip_cuid_97d24597f6badc8e
	.section	.bss,"aw",@nobits
	.globl	__hip_cuid_97d24597f6badc8e
__hip_cuid_97d24597f6badc8e:
	.byte	0                               ; 0x0
	.size	__hip_cuid_97d24597f6badc8e, 1

	.ident	"AMD clang version 19.0.0git (https://github.com/RadeonOpenCompute/llvm-project roc-6.4.0 25133 c7fe45cf4b819c5991fe208aaa96edf142730f1d)"
	.section	".note.GNU-stack","",@progbits
	.addrsig
	.addrsig_sym __hip_cuid_97d24597f6badc8e
	.amdgpu_metadata
---
amdhsa.kernels:
  - .args:
      - .actual_access:  read_only
        .address_space:  global
        .offset:         0
        .size:           8
        .value_kind:     global_buffer
      - .offset:         8
        .size:           8
        .value_kind:     by_value
      - .actual_access:  read_only
        .address_space:  global
        .offset:         16
        .size:           8
        .value_kind:     global_buffer
      - .actual_access:  read_only
        .address_space:  global
        .offset:         24
        .size:           8
        .value_kind:     global_buffer
      - .actual_access:  read_only
        .address_space:  global
        .offset:         32
        .size:           8
        .value_kind:     global_buffer
      - .offset:         40
        .size:           8
        .value_kind:     by_value
      - .actual_access:  read_only
        .address_space:  global
        .offset:         48
        .size:           8
        .value_kind:     global_buffer
      - .actual_access:  read_only
        .address_space:  global
        .offset:         56
        .size:           8
        .value_kind:     global_buffer
      - .offset:         64
        .size:           4
        .value_kind:     by_value
      - .actual_access:  read_only
        .address_space:  global
        .offset:         72
        .size:           8
        .value_kind:     global_buffer
      - .actual_access:  read_only
        .address_space:  global
        .offset:         80
        .size:           8
        .value_kind:     global_buffer
      - .actual_access:  read_only
        .address_space:  global
        .offset:         88
        .size:           8
        .value_kind:     global_buffer
      - .actual_access:  write_only
        .address_space:  global
        .offset:         96
        .size:           8
        .value_kind:     global_buffer
    .group_segment_fixed_size: 0
    .kernarg_segment_align: 8
    .kernarg_segment_size: 104
    .language:       OpenCL C
    .language_version:
      - 2
      - 0
    .max_flat_workgroup_size: 100
    .name:           fft_rtc_back_len1000_factors_10_10_10_wgs_100_tpt_100_halfLds_sp_op_CI_CI_unitstride_sbrr_R2C_dirReg
    .private_segment_fixed_size: 0
    .sgpr_count:     41
    .sgpr_spill_count: 0
    .symbol:         fft_rtc_back_len1000_factors_10_10_10_wgs_100_tpt_100_halfLds_sp_op_CI_CI_unitstride_sbrr_R2C_dirReg.kd
    .uniform_work_group_size: 1
    .uses_dynamic_stack: false
    .vgpr_count:     65
    .vgpr_spill_count: 0
    .wavefront_size: 32
    .workgroup_processor_mode: 1
amdhsa.target:   amdgcn-amd-amdhsa--gfx1201
amdhsa.version:
  - 1
  - 2
...

	.end_amdgpu_metadata
